;; amdgpu-corpus repo=ROCm/rocFFT kind=compiled arch=gfx950 opt=O3
	.text
	.amdgcn_target "amdgcn-amd-amdhsa--gfx950"
	.amdhsa_code_object_version 6
	.protected	fft_rtc_back_len351_factors_13_3_9_wgs_117_tpt_39_sp_op_CI_CI_sbrr_dirReg ; -- Begin function fft_rtc_back_len351_factors_13_3_9_wgs_117_tpt_39_sp_op_CI_CI_sbrr_dirReg
	.globl	fft_rtc_back_len351_factors_13_3_9_wgs_117_tpt_39_sp_op_CI_CI_sbrr_dirReg
	.p2align	8
	.type	fft_rtc_back_len351_factors_13_3_9_wgs_117_tpt_39_sp_op_CI_CI_sbrr_dirReg,@function
fft_rtc_back_len351_factors_13_3_9_wgs_117_tpt_39_sp_op_CI_CI_sbrr_dirReg: ; @fft_rtc_back_len351_factors_13_3_9_wgs_117_tpt_39_sp_op_CI_CI_sbrr_dirReg
; %bb.0:
	s_load_dwordx4 s[12:15], s[0:1], 0x18
	s_load_dwordx4 s[8:11], s[0:1], 0x0
	;; [unrolled: 1-line block ×3, first 2 shown]
	v_mul_u32_u24_e32 v1, 0x691, v0
	v_lshrrev_b32_e32 v2, 16, v1
	s_waitcnt lgkmcnt(0)
	s_load_dwordx2 s[18:19], s[12:13], 0x0
	s_load_dwordx2 s[16:17], s[14:15], 0x0
	v_mad_u64_u32 v[6:7], s[2:3], s2, 3, v[2:3]
	v_mov_b32_e32 v10, 0
	v_mov_b32_e32 v7, v10
	v_cmp_lt_u64_e64 s[2:3], s[10:11], 2
	v_mov_b64_e32 v[8:9], 0
	s_and_b64 vcc, exec, s[2:3]
	v_mov_b64_e32 v[2:3], v[8:9]
	v_mov_b64_e32 v[4:5], v[6:7]
	s_cbranch_vccnz .LBB0_8
; %bb.1:
	s_load_dwordx2 s[2:3], s[0:1], 0x10
	s_add_u32 s20, s14, 8
	s_addc_u32 s21, s15, 0
	s_add_u32 s22, s12, 8
	s_addc_u32 s23, s13, 0
	s_waitcnt lgkmcnt(0)
	s_add_u32 s24, s2, 8
	v_mov_b64_e32 v[8:9], 0
	s_addc_u32 s25, s3, 0
	s_mov_b64 s[26:27], 1
	v_mov_b64_e32 v[2:3], v[8:9]
	v_mov_b64_e32 v[12:13], v[6:7]
.LBB0_2:                                ; =>This Inner Loop Header: Depth=1
	s_load_dwordx2 s[28:29], s[24:25], 0x0
                                        ; implicit-def: $vgpr4_vgpr5
	s_waitcnt lgkmcnt(0)
	v_or_b32_e32 v11, s29, v13
	v_cmp_ne_u64_e32 vcc, 0, v[10:11]
	s_and_saveexec_b64 s[2:3], vcc
	s_xor_b64 s[30:31], exec, s[2:3]
	s_cbranch_execz .LBB0_4
; %bb.3:                                ;   in Loop: Header=BB0_2 Depth=1
	v_cvt_f32_u32_e32 v1, s28
	v_cvt_f32_u32_e32 v4, s29
	s_sub_u32 s2, 0, s28
	s_subb_u32 s3, 0, s29
	v_fmac_f32_e32 v1, 0x4f800000, v4
	v_rcp_f32_e32 v1, v1
	s_nop 0
	v_mul_f32_e32 v1, 0x5f7ffffc, v1
	v_mul_f32_e32 v4, 0x2f800000, v1
	v_trunc_f32_e32 v4, v4
	v_fmac_f32_e32 v1, 0xcf800000, v4
	v_cvt_u32_f32_e32 v7, v4
	v_cvt_u32_f32_e32 v1, v1
	v_mul_lo_u32 v4, s2, v7
	v_mul_hi_u32 v11, s2, v1
	v_mul_lo_u32 v5, s3, v1
	v_add_u32_e32 v11, v11, v4
	v_mul_lo_u32 v16, s2, v1
	v_add_u32_e32 v11, v11, v5
	v_mul_hi_u32 v4, v1, v16
	v_mul_hi_u32 v15, v1, v11
	v_mul_lo_u32 v14, v1, v11
	v_mov_b32_e32 v5, v10
	v_lshl_add_u64 v[4:5], v[4:5], 0, v[14:15]
	v_mul_hi_u32 v15, v7, v16
	v_mul_lo_u32 v16, v7, v16
	v_add_co_u32_e32 v4, vcc, v4, v16
	v_mul_hi_u32 v14, v7, v11
	s_nop 0
	v_addc_co_u32_e32 v4, vcc, v5, v15, vcc
	v_mov_b32_e32 v5, v10
	s_nop 0
	v_addc_co_u32_e32 v15, vcc, 0, v14, vcc
	v_mul_lo_u32 v14, v7, v11
	v_lshl_add_u64 v[4:5], v[4:5], 0, v[14:15]
	v_add_co_u32_e32 v1, vcc, v1, v4
	v_mul_lo_u32 v14, s2, v1
	s_nop 0
	v_addc_co_u32_e32 v7, vcc, v7, v5, vcc
	v_mul_lo_u32 v4, s2, v7
	v_mul_hi_u32 v5, s2, v1
	v_add_u32_e32 v4, v5, v4
	v_mul_lo_u32 v5, s3, v1
	v_add_u32_e32 v11, v4, v5
	v_mul_hi_u32 v17, v7, v14
	v_mul_lo_u32 v18, v7, v14
	v_mul_hi_u32 v5, v1, v11
	v_mul_lo_u32 v4, v1, v11
	v_mul_hi_u32 v14, v1, v14
	v_mov_b32_e32 v15, v10
	v_lshl_add_u64 v[4:5], v[14:15], 0, v[4:5]
	v_add_co_u32_e32 v4, vcc, v4, v18
	v_mul_hi_u32 v16, v7, v11
	s_nop 0
	v_addc_co_u32_e32 v4, vcc, v5, v17, vcc
	v_mul_lo_u32 v14, v7, v11
	s_nop 0
	v_addc_co_u32_e32 v15, vcc, 0, v16, vcc
	v_mov_b32_e32 v5, v10
	v_lshl_add_u64 v[4:5], v[4:5], 0, v[14:15]
	v_add_co_u32_e32 v1, vcc, v1, v4
	v_mul_hi_u32 v14, v12, v1
	s_nop 0
	v_addc_co_u32_e32 v7, vcc, v7, v5, vcc
	v_mad_u64_u32 v[4:5], s[2:3], v12, v7, 0
	v_mov_b32_e32 v15, v10
	v_lshl_add_u64 v[4:5], v[14:15], 0, v[4:5]
	v_mad_u64_u32 v[16:17], s[2:3], v13, v1, 0
	v_add_co_u32_e32 v1, vcc, v4, v16
	v_mad_u64_u32 v[14:15], s[2:3], v13, v7, 0
	s_nop 0
	v_addc_co_u32_e32 v4, vcc, v5, v17, vcc
	v_mov_b32_e32 v5, v10
	s_nop 0
	v_addc_co_u32_e32 v15, vcc, 0, v15, vcc
	v_lshl_add_u64 v[4:5], v[4:5], 0, v[14:15]
	v_mul_lo_u32 v1, s29, v4
	v_mul_lo_u32 v7, s28, v5
	v_mad_u64_u32 v[14:15], s[2:3], s28, v4, 0
	v_add3_u32 v1, v15, v7, v1
	v_sub_u32_e32 v7, v13, v1
	v_mov_b32_e32 v11, s29
	v_sub_co_u32_e32 v18, vcc, v12, v14
	v_lshl_add_u64 v[16:17], v[4:5], 0, 1
	s_nop 0
	v_subb_co_u32_e64 v7, s[2:3], v7, v11, vcc
	v_subrev_co_u32_e64 v11, s[2:3], s28, v18
	v_subb_co_u32_e32 v1, vcc, v13, v1, vcc
	s_nop 0
	v_subbrev_co_u32_e64 v7, s[2:3], 0, v7, s[2:3]
	v_cmp_le_u32_e64 s[2:3], s29, v7
	v_cmp_le_u32_e32 vcc, s29, v1
	s_nop 0
	v_cndmask_b32_e64 v14, 0, -1, s[2:3]
	v_cmp_le_u32_e64 s[2:3], s28, v11
	s_nop 1
	v_cndmask_b32_e64 v11, 0, -1, s[2:3]
	v_cmp_eq_u32_e64 s[2:3], s29, v7
	s_nop 1
	v_cndmask_b32_e64 v7, v14, v11, s[2:3]
	v_lshl_add_u64 v[14:15], v[4:5], 0, 2
	v_cmp_ne_u32_e64 s[2:3], 0, v7
	v_cndmask_b32_e64 v11, 0, -1, vcc
	v_cmp_le_u32_e32 vcc, s28, v18
	v_cndmask_b32_e64 v7, v17, v15, s[2:3]
	s_nop 0
	v_cndmask_b32_e64 v15, 0, -1, vcc
	v_cmp_eq_u32_e32 vcc, s29, v1
	s_nop 1
	v_cndmask_b32_e32 v1, v11, v15, vcc
	v_cmp_ne_u32_e32 vcc, 0, v1
	v_cndmask_b32_e64 v1, v16, v14, s[2:3]
	s_nop 0
	v_cndmask_b32_e32 v5, v5, v7, vcc
	v_cndmask_b32_e32 v4, v4, v1, vcc
.LBB0_4:                                ;   in Loop: Header=BB0_2 Depth=1
	s_andn2_saveexec_b64 s[2:3], s[30:31]
	s_cbranch_execz .LBB0_6
; %bb.5:                                ;   in Loop: Header=BB0_2 Depth=1
	v_cvt_f32_u32_e32 v1, s28
	s_sub_i32 s30, 0, s28
	v_rcp_iflag_f32_e32 v1, v1
	s_nop 0
	v_mul_f32_e32 v1, 0x4f7ffffe, v1
	v_cvt_u32_f32_e32 v1, v1
	v_mul_lo_u32 v4, s30, v1
	v_mul_hi_u32 v4, v1, v4
	v_add_u32_e32 v1, v1, v4
	v_mul_hi_u32 v1, v12, v1
	v_mul_lo_u32 v4, v1, s28
	v_sub_u32_e32 v4, v12, v4
	v_add_u32_e32 v5, 1, v1
	v_subrev_u32_e32 v7, s28, v4
	v_cmp_le_u32_e32 vcc, s28, v4
	s_nop 1
	v_cndmask_b32_e32 v4, v4, v7, vcc
	v_cndmask_b32_e32 v1, v1, v5, vcc
	v_add_u32_e32 v5, 1, v1
	v_cmp_le_u32_e32 vcc, s28, v4
	s_nop 1
	v_cndmask_b32_e32 v4, v1, v5, vcc
	v_mov_b32_e32 v5, v10
.LBB0_6:                                ;   in Loop: Header=BB0_2 Depth=1
	s_or_b64 exec, exec, s[2:3]
	v_mad_u64_u32 v[14:15], s[2:3], v4, s28, 0
	s_load_dwordx2 s[2:3], s[22:23], 0x0
	s_add_u32 s26, s26, 1
	v_mul_lo_u32 v1, v5, s28
	v_mul_lo_u32 v7, v4, s29
	s_load_dwordx2 s[28:29], s[20:21], 0x0
	s_addc_u32 s27, s27, 0
	v_add3_u32 v1, v15, v7, v1
	v_sub_co_u32_e32 v7, vcc, v12, v14
	s_add_u32 s20, s20, 8
	s_nop 0
	v_subb_co_u32_e32 v1, vcc, v13, v1, vcc
	s_addc_u32 s21, s21, 0
	s_waitcnt lgkmcnt(0)
	v_mul_lo_u32 v11, s2, v1
	v_mul_lo_u32 v12, s3, v7
	v_mad_u64_u32 v[8:9], s[2:3], s2, v7, v[8:9]
	s_add_u32 s22, s22, 8
	v_add3_u32 v9, v12, v9, v11
	s_addc_u32 s23, s23, 0
	v_mov_b64_e32 v[12:13], s[10:11]
	v_mul_lo_u32 v1, s28, v1
	v_mul_lo_u32 v11, s29, v7
	v_mad_u64_u32 v[2:3], s[2:3], s28, v7, v[2:3]
	s_add_u32 s24, s24, 8
	v_cmp_ge_u64_e32 vcc, s[26:27], v[12:13]
	v_add3_u32 v3, v11, v3, v1
	s_addc_u32 s25, s25, 0
	s_cbranch_vccnz .LBB0_8
; %bb.7:                                ;   in Loop: Header=BB0_2 Depth=1
	v_mov_b64_e32 v[12:13], v[4:5]
	s_branch .LBB0_2
.LBB0_8:
	s_load_dwordx2 s[0:1], s[0:1], 0x28
	s_lshl_b64 s[20:21], s[10:11], 3
	s_add_u32 s2, s14, s20
	s_addc_u32 s3, s15, s21
	s_load_dwordx2 s[2:3], s[2:3], 0x0
	s_waitcnt lgkmcnt(0)
	v_cmp_gt_u64_e32 vcc, s[0:1], v[4:5]
	s_mov_b32 s0, 0x6906907
	v_mul_hi_u32 v1, v0, s0
	v_mul_u32_u24_e32 v1, 39, v1
	v_sub_u32_e32 v96, v0, v1
	v_mov_b32_e32 v97, 0
	v_mov_b32_e32 v0, 0
	;; [unrolled: 1-line block ×3, first 2 shown]
                                        ; implicit-def: $vgpr16
                                        ; implicit-def: $vgpr18
                                        ; implicit-def: $vgpr20
                                        ; implicit-def: $vgpr22
                                        ; implicit-def: $vgpr24
                                        ; implicit-def: $vgpr10
                                        ; implicit-def: $vgpr26
                                        ; implicit-def: $vgpr28
                                        ; implicit-def: $vgpr30
                                        ; implicit-def: $vgpr32
                                        ; implicit-def: $vgpr12
                                        ; implicit-def: $vgpr14
	s_and_saveexec_b64 s[10:11], vcc
	s_cbranch_execz .LBB0_12
; %bb.9:
	v_cmp_gt_u32_e64 s[0:1], 27, v96
	v_mov_b32_e32 v1, 0
	v_mov_b32_e32 v0, 0
                                        ; implicit-def: $vgpr15
                                        ; implicit-def: $vgpr13
                                        ; implicit-def: $vgpr33
                                        ; implicit-def: $vgpr31
                                        ; implicit-def: $vgpr29
                                        ; implicit-def: $vgpr27
                                        ; implicit-def: $vgpr11
                                        ; implicit-def: $vgpr25
                                        ; implicit-def: $vgpr23
                                        ; implicit-def: $vgpr21
                                        ; implicit-def: $vgpr19
                                        ; implicit-def: $vgpr17
	s_and_saveexec_b64 s[14:15], s[0:1]
	s_cbranch_execz .LBB0_11
; %bb.10:
	s_add_u32 s0, s12, s20
	s_addc_u32 s1, s13, s21
	s_load_dwordx2 s[0:1], s[0:1], 0x0
	s_waitcnt lgkmcnt(0)
	v_mul_lo_u32 v7, s1, v4
	v_mul_lo_u32 v10, s0, v5
	v_mad_u64_u32 v[0:1], s[0:1], s0, v4, 0
	v_add3_u32 v1, v1, v10, v7
	v_mad_u64_u32 v[10:11], s[0:1], s18, v96, 0
	v_mov_b32_e32 v12, v11
	v_mad_u64_u32 v[12:13], s[0:1], s19, v96, v[12:13]
	v_lshl_add_u64 v[0:1], v[0:1], 3, s[4:5]
	v_add_u32_e32 v7, 27, v96
	v_mov_b32_e32 v11, v12
	v_lshl_add_u64 v[8:9], v[8:9], 3, v[0:1]
	v_mad_u64_u32 v[0:1], s[0:1], s18, v7, 0
	v_lshl_add_u64 v[16:17], v[10:11], 3, v[8:9]
	v_mov_b32_e32 v10, v1
	v_mad_u64_u32 v[10:11], s[0:1], s19, v7, v[10:11]
	v_mov_b32_e32 v1, v10
	v_add_u32_e32 v7, 54, v96
	v_lshl_add_u64 v[18:19], v[0:1], 3, v[8:9]
	v_mad_u64_u32 v[0:1], s[0:1], s18, v7, 0
	v_mov_b32_e32 v10, v1
	v_mad_u64_u32 v[10:11], s[0:1], s19, v7, v[10:11]
	v_mov_b32_e32 v1, v10
	v_add_u32_e32 v7, 0x51, v96
	v_lshl_add_u64 v[20:21], v[0:1], 3, v[8:9]
	v_mad_u64_u32 v[0:1], s[0:1], s18, v7, 0
	v_mov_b32_e32 v10, v1
	v_mad_u64_u32 v[10:11], s[0:1], s19, v7, v[10:11]
	v_mov_b32_e32 v1, v10
	v_add_u32_e32 v7, 0x6c, v96
	v_lshl_add_u64 v[22:23], v[0:1], 3, v[8:9]
	global_load_dwordx2 v[0:1], v[16:17], off
	global_load_dwordx2 v[14:15], v[18:19], off
	;; [unrolled: 1-line block ×4, first 2 shown]
	v_mad_u64_u32 v[16:17], s[0:1], s18, v7, 0
	v_mov_b32_e32 v18, v17
	v_mad_u64_u32 v[18:19], s[0:1], s19, v7, v[18:19]
	v_mov_b32_e32 v17, v18
	v_add_u32_e32 v7, 0x87, v96
	v_lshl_add_u64 v[34:35], v[16:17], 3, v[8:9]
	v_mad_u64_u32 v[16:17], s[0:1], s18, v7, 0
	v_mov_b32_e32 v18, v17
	v_mad_u64_u32 v[18:19], s[0:1], s19, v7, v[18:19]
	v_mov_b32_e32 v17, v18
	v_add_u32_e32 v7, 0xa2, v96
	v_lshl_add_u64 v[36:37], v[16:17], 3, v[8:9]
	;; [unrolled: 6-line block ×8, first 2 shown]
	v_mad_u64_u32 v[16:17], s[0:1], s18, v7, 0
	v_mov_b32_e32 v18, v17
	v_mad_u64_u32 v[18:19], s[0:1], s19, v7, v[18:19]
	v_mov_b32_e32 v17, v18
	v_lshl_add_u64 v[8:9], v[16:17], 3, v[8:9]
	global_load_dwordx2 v[26:27], v[34:35], off
	global_load_dwordx2 v[28:29], v[36:37], off
	;; [unrolled: 1-line block ×9, first 2 shown]
.LBB0_11:
	s_or_b64 exec, exec, s[14:15]
	v_mov_b32_e32 v97, v96
.LBB0_12:
	s_or_b64 exec, exec, s[10:11]
	s_mov_b32 s0, 0xaaaaaaab
	v_mul_hi_u32 v7, v6, s0
	v_lshrrev_b32_e32 v7, 1, v7
	v_lshl_add_u32 v7, v7, 1, v7
	v_sub_u32_e32 v6, v6, v7
	v_mul_u32_u24_e32 v6, 0x15f, v6
	v_cmp_gt_u32_e64 s[0:1], 27, v96
	v_lshlrev_b32_e32 v98, 3, v6
	s_and_saveexec_b64 s[4:5], s[0:1]
	s_cbranch_execz .LBB0_14
; %bb.13:
	s_waitcnt vmcnt(11)
	v_pk_add_f32 v[6:7], v[0:1], v[14:15]
	s_mov_b32 s0, 0x3f62ad3f
	s_waitcnt vmcnt(10)
	v_pk_add_f32 v[6:7], v[6:7], v[12:13]
	s_waitcnt vmcnt(0)
	v_pk_add_f32 v[72:73], v[14:15], v[16:17]
	v_pk_add_f32 v[6:7], v[6:7], v[10:11]
	v_pk_add_f32 v[8:9], v[14:15], v[16:17] neg_lo:[0,1] neg_hi:[0,1]
	v_pk_add_f32 v[6:7], v[6:7], v[26:27]
	s_mov_b32 s1, 0xbeedf032
	v_pk_add_f32 v[6:7], v[6:7], v[28:29]
	s_mov_b32 s10, s1
	;; [unrolled: 2-line block ×3, first 2 shown]
	v_pk_add_f32 v[6:7], v[6:7], v[32:33]
	v_pk_add_f32 v[64:65], v[10:11], v[20:21]
	;; [unrolled: 1-line block ×3, first 2 shown]
	v_pk_add_f32 v[36:37], v[10:11], v[20:21] neg_lo:[0,1] neg_hi:[0,1]
	v_pk_add_f32 v[6:7], v[22:23], v[6:7]
	v_pk_add_f32 v[66:67], v[12:13], v[18:19]
	;; [unrolled: 1-line block ×3, first 2 shown]
	v_pk_add_f32 v[34:35], v[12:13], v[18:19] neg_lo:[0,1] neg_hi:[0,1]
	v_pk_add_f32 v[6:7], v[18:19], v[6:7]
	v_mul_u32_u24_e32 v14, 0x68, v96
	v_pk_add_f32 v[46:47], v[16:17], v[6:7]
	v_mov_b32_e32 v6, v72
	v_mov_b32_e32 v72, v9
	;; [unrolled: 1-line block ×3, first 2 shown]
	v_pk_mul_f32 v[10:11], v[72:73], s[10:11]
	s_mov_b32 s10, 0x3f116cb1
	v_pk_fma_f32 v[8:9], v[6:7], s[0:1], v[10:11]
	v_pk_fma_f32 v[12:13], v[6:7], s[0:1], v[10:11] neg_lo:[1,0,0] neg_hi:[1,0,0]
	s_mov_b32 s11, 0xbf52af12
	v_mov_b32_e32 v12, v8
	v_pk_add_f32 v[18:19], v[0:1], v[12:13]
	v_mov_b32_e32 v12, v66
	v_mov_b32_e32 v66, v35
	s_mov_b32 s34, s11
	s_mov_b32 s35, s10
	v_mov_b32_e32 v13, v34
	v_pk_mul_f32 v[16:17], v[66:67], s[34:35]
	v_add3_u32 v99, 0, v14, v98
	v_pk_fma_f32 v[14:15], v[12:13], s[10:11], v[16:17]
	v_pk_fma_f32 v[20:21], v[12:13], s[10:11], v[16:17] neg_lo:[1,0,0] neg_hi:[1,0,0]
	s_mov_b32 s12, 0x3df6dbef
	v_mov_b32_e32 v20, v14
	s_mov_b32 s13, 0xbf7e222b
	v_pk_add_f32 v[56:57], v[28:29], v[24:25]
	v_pk_add_f32 v[40:41], v[28:29], v[24:25] neg_lo:[0,1] neg_hi:[0,1]
	v_pk_add_f32 v[24:25], v[18:19], v[20:21]
	v_mov_b32_e32 v18, v64
	v_mov_b32_e32 v64, v37
	s_mov_b32 s42, s13
	s_mov_b32 s43, s12
	v_pk_add_f32 v[58:59], v[26:27], v[22:23]
	v_pk_add_f32 v[38:39], v[26:27], v[22:23] neg_lo:[0,1] neg_hi:[0,1]
	v_mov_b32_e32 v19, v36
	v_pk_mul_f32 v[22:23], v[64:65], s[42:43]
	s_mov_b32 s14, 0xbeb58ec6
	v_pk_fma_f32 v[20:21], v[18:19], s[12:13], v[22:23]
	v_pk_fma_f32 v[26:27], v[18:19], s[12:13], v[22:23] neg_lo:[1,0,0] neg_hi:[1,0,0]
	s_mov_b32 s15, 0xbf6f5d39
	v_mov_b32_e32 v26, v20
	v_pk_add_f32 v[44:45], v[30:31], v[32:33]
	v_pk_add_f32 v[42:43], v[30:31], v[32:33] neg_lo:[0,1] neg_hi:[0,1]
	v_pk_add_f32 v[30:31], v[24:25], v[26:27]
	v_mov_b32_e32 v24, v58
	v_mov_b32_e32 v58, v39
	s_mov_b32 s28, s15
	s_mov_b32 s29, s14
	v_mov_b32_e32 v25, v38
	v_pk_mul_f32 v[28:29], v[58:59], s[28:29]
	s_mov_b32 s18, 0xbf3f9e67
	v_pk_fma_f32 v[26:27], v[24:25], s[14:15], v[28:29]
	v_pk_fma_f32 v[32:33], v[24:25], s[14:15], v[28:29] neg_lo:[1,0,0] neg_hi:[1,0,0]
	s_mov_b32 s19, 0xbf29c268
	v_mov_b32_e32 v32, v26
	v_pk_add_f32 v[36:37], v[30:31], v[32:33]
	v_mov_b32_e32 v30, v56
	v_mov_b32_e32 v56, v41
	s_mov_b32 s36, s19
	s_mov_b32 s37, s18
	v_mov_b32_e32 v31, v40
	v_pk_mul_f32 v[34:35], v[56:57], s[36:37]
	s_mov_b32 s20, 0xbf788fa5
	v_pk_fma_f32 v[32:33], v[30:31], s[18:19], v[34:35]
	v_pk_fma_f32 v[38:39], v[30:31], s[18:19], v[34:35] neg_lo:[1,0,0] neg_hi:[1,0,0]
	s_mov_b32 s21, 0xbe750f2a
	v_mov_b32_e32 v38, v32
	v_pk_add_f32 v[48:49], v[36:37], v[38:39]
	v_mov_b32_e32 v36, v44
	v_mov_b32_e32 v44, v43
	s_mov_b32 s38, s21
	s_mov_b32 s39, s20
	v_mov_b32_e32 v37, v42
	v_pk_mul_f32 v[40:41], v[44:45], s[38:39]
	v_pk_mul_f32 v[50:51], v[66:67], s[28:29]
	v_pk_fma_f32 v[38:39], v[36:37], s[20:21], v[40:41]
	v_pk_fma_f32 v[42:43], v[36:37], s[20:21], v[40:41] neg_lo:[1,0,0] neg_hi:[1,0,0]
	v_pk_fma_f32 v[54:55], v[12:13], s[14:15], v[50:51] neg_lo:[1,0,0] neg_hi:[1,0,0]
	v_mov_b32_e32 v42, v38
	v_pk_add_f32 v[42:43], v[48:49], v[42:43]
	ds_write2_b64 v99, v[46:47], v[42:43] offset1:1
	v_pk_mul_f32 v[46:47], v[72:73], s[34:35]
	s_mov_b32 s23, 0x3f29c268
	v_pk_fma_f32 v[42:43], v[6:7], s[10:11], v[46:47]
	v_pk_fma_f32 v[48:49], v[6:7], s[10:11], v[46:47] neg_lo:[1,0,0] neg_hi:[1,0,0]
	s_mov_b32 s44, s23
	v_mov_b32_e32 v48, v42
	v_pk_add_f32 v[52:53], v[0:1], v[48:49]
	v_pk_fma_f32 v[48:49], v[12:13], s[14:15], v[50:51]
	s_mov_b32 s45, s18
	v_mov_b32_e32 v54, v48
	v_pk_add_f32 v[60:61], v[52:53], v[54:55]
	v_pk_mul_f32 v[54:55], v[64:65], s[38:39]
	s_mov_b32 s22, s18
	v_pk_fma_f32 v[52:53], v[18:19], s[20:21], v[54:55]
	v_pk_fma_f32 v[62:63], v[18:19], s[20:21], v[54:55] neg_lo:[1,0,0] neg_hi:[1,0,0]
	s_mov_b32 s25, 0x3f7e222b
	v_mov_b32_e32 v62, v52
	v_pk_add_f32 v[68:69], v[60:61], v[62:63]
	v_pk_mul_f32 v[62:63], v[58:59], s[44:45]
	s_mov_b32 s40, s25
	v_pk_fma_f32 v[60:61], v[24:25], s[22:23], v[62:63]
	v_pk_fma_f32 v[70:71], v[24:25], s[22:23], v[62:63] neg_lo:[1,0,0] neg_hi:[1,0,0]
	s_mov_b32 s41, s12
	v_mov_b32_e32 v70, v60
	v_pk_add_f32 v[74:75], v[68:69], v[70:71]
	s_mov_b32 s24, s12
	v_pk_mul_f32 v[70:71], v[56:57], s[40:41]
	s_mov_b32 s27, 0x3eedf032
	v_pk_fma_f32 v[68:69], v[30:31], s[24:25], v[70:71]
	v_pk_fma_f32 v[76:77], v[30:31], s[24:25], v[70:71] neg_lo:[1,0,0] neg_hi:[1,0,0]
	s_mov_b32 s46, s27
	v_mov_b32_e32 v76, v68
	s_mov_b32 s47, s0
	v_pk_add_f32 v[78:79], v[74:75], v[76:77]
	s_mov_b32 s26, s0
	v_pk_mul_f32 v[76:77], v[44:45], s[46:47]
	v_pk_mul_f32 v[84:85], v[66:67], s[38:39]
	v_pk_fma_f32 v[74:75], v[36:37], s[26:27], v[76:77]
	v_pk_fma_f32 v[80:81], v[36:37], s[26:27], v[76:77] neg_lo:[1,0,0] neg_hi:[1,0,0]
	v_pk_fma_f32 v[88:89], v[12:13], s[20:21], v[84:85] neg_lo:[1,0,0] neg_hi:[1,0,0]
	v_mov_b32_e32 v80, v74
	v_pk_add_f32 v[100:101], v[78:79], v[80:81]
	v_pk_mul_f32 v[80:81], v[72:73], s[42:43]
	s_mov_b32 s31, 0x3f6f5d39
	v_pk_fma_f32 v[78:79], v[6:7], s[12:13], v[80:81]
	v_pk_fma_f32 v[82:83], v[6:7], s[12:13], v[80:81] neg_lo:[1,0,0] neg_hi:[1,0,0]
	s_mov_b32 s48, s31
	v_mov_b32_e32 v82, v78
	v_pk_add_f32 v[86:87], v[0:1], v[82:83]
	v_pk_fma_f32 v[82:83], v[12:13], s[20:21], v[84:85]
	s_mov_b32 s49, s14
	v_mov_b32_e32 v88, v82
	v_pk_add_f32 v[90:91], v[86:87], v[88:89]
	s_mov_b32 s30, s14
	v_pk_mul_f32 v[88:89], v[64:65], s[48:49]
	v_pk_mul_f32 v[104:105], v[56:57], s[34:35]
	v_pk_fma_f32 v[86:87], v[18:19], s[30:31], v[88:89]
	v_pk_fma_f32 v[92:93], v[18:19], s[30:31], v[88:89] neg_lo:[1,0,0] neg_hi:[1,0,0]
	v_pk_fma_f32 v[106:107], v[30:31], s[10:11], v[104:105] neg_lo:[1,0,0] neg_hi:[1,0,0]
	v_mov_b32_e32 v92, v86
	v_pk_add_f32 v[94:95], v[90:91], v[92:93]
	v_pk_mul_f32 v[92:93], v[58:59], s[46:47]
	v_pk_mul_f32 v[112:113], v[66:67], s[44:45]
	v_pk_fma_f32 v[90:91], v[24:25], s[26:27], v[92:93]
	v_pk_fma_f32 v[102:103], v[24:25], s[26:27], v[92:93] neg_lo:[1,0,0] neg_hi:[1,0,0]
	v_pk_fma_f32 v[114:115], v[12:13], s[22:23], v[112:113]
	v_mov_b32_e32 v102, v90
	v_pk_add_f32 v[102:103], v[94:95], v[102:103]
	v_pk_fma_f32 v[94:95], v[30:31], s[10:11], v[104:105]
	v_pk_fma_f32 v[116:117], v[12:13], s[22:23], v[112:113] neg_lo:[1,0,0] neg_hi:[1,0,0]
	v_mov_b32_e32 v106, v94
	v_pk_add_f32 v[102:103], v[102:103], v[106:107]
	v_pk_mul_f32 v[106:107], v[44:45], s[36:37]
	v_mov_b32_e32 v116, v114
	v_pk_fma_f32 v[108:109], v[36:37], s[18:19], v[106:107]
	v_pk_fma_f32 v[110:111], v[36:37], s[18:19], v[106:107] neg_lo:[1,0,0] neg_hi:[1,0,0]
	s_mov_b32 s49, s20
	v_mov_b32_e32 v110, v108
	v_pk_add_f32 v[102:103], v[102:103], v[110:111]
	ds_write2_b64 v99, v[100:101], v[102:103] offset0:2 offset1:3
	v_pk_mul_f32 v[100:101], v[72:73], s[28:29]
	s_mov_b32 s45, 0x3f52af12
	v_pk_fma_f32 v[102:103], v[6:7], s[14:15], v[100:101]
	v_pk_fma_f32 v[110:111], v[6:7], s[14:15], v[100:101] neg_lo:[1,0,0] neg_hi:[1,0,0]
	s_mov_b32 s50, s45
	v_mov_b32_e32 v110, v102
	v_pk_add_f32 v[110:111], v[0:1], v[110:111]
	s_mov_b32 s51, s10
	v_pk_add_f32 v[110:111], v[110:111], v[116:117]
	v_pk_mul_f32 v[116:117], v[64:65], s[46:47]
	s_mov_b32 s44, s10
	v_pk_fma_f32 v[118:119], v[18:19], s[26:27], v[116:117]
	v_pk_fma_f32 v[120:121], v[18:19], s[26:27], v[116:117] neg_lo:[1,0,0] neg_hi:[1,0,0]
	v_pk_mul_f32 v[138:139], v[66:67], s[40:41]
	v_mov_b32_e32 v120, v118
	v_pk_add_f32 v[110:111], v[110:111], v[120:121]
	v_pk_mul_f32 v[120:121], v[58:59], s[42:43]
	s_mov_b32 s43, 0x3e750f2a
	v_pk_fma_f32 v[122:123], v[24:25], s[12:13], v[120:121]
	v_pk_fma_f32 v[124:125], v[24:25], s[12:13], v[120:121] neg_lo:[1,0,0] neg_hi:[1,0,0]
	s_mov_b32 s48, s43
	v_mov_b32_e32 v124, v122
	v_pk_add_f32 v[110:111], v[110:111], v[124:125]
	s_mov_b32 s42, s20
	v_pk_mul_f32 v[124:125], v[56:57], s[48:49]
	v_pk_fma_f32 v[140:141], v[12:13], s[24:25], v[138:139]
	v_pk_fma_f32 v[126:127], v[30:31], s[42:43], v[124:125]
	v_pk_fma_f32 v[128:129], v[30:31], s[42:43], v[124:125] neg_lo:[1,0,0] neg_hi:[1,0,0]
	v_pk_fma_f32 v[142:143], v[12:13], s[24:25], v[138:139] neg_lo:[1,0,0] neg_hi:[1,0,0]
	v_mov_b32_e32 v128, v126
	v_pk_add_f32 v[110:111], v[110:111], v[128:129]
	v_pk_mul_f32 v[128:129], v[44:45], s[50:51]
	v_mov_b32_e32 v142, v140
	v_pk_fma_f32 v[130:131], v[36:37], s[44:45], v[128:129]
	v_pk_fma_f32 v[132:133], v[36:37], s[44:45], v[128:129] neg_lo:[1,0,0] neg_hi:[1,0,0]
	v_pk_mul_f32 v[66:67], v[66:67], s[46:47]
	v_mov_b32_e32 v132, v130
	v_pk_add_f32 v[110:111], v[110:111], v[132:133]
	v_pk_mul_f32 v[132:133], v[72:73], s[36:37]
	v_pk_mul_f32 v[72:73], v[72:73], s[38:39]
	v_pk_fma_f32 v[134:135], v[6:7], s[18:19], v[132:133]
	v_pk_fma_f32 v[136:137], v[6:7], s[18:19], v[132:133] neg_lo:[1,0,0] neg_hi:[1,0,0]
	v_pk_fma_f32 v[160:161], v[12:13], s[26:27], v[66:67] neg_lo:[1,0,0] neg_hi:[1,0,0]
	v_mov_b32_e32 v136, v134
	v_pk_add_f32 v[136:137], v[0:1], v[136:137]
	v_pk_fma_f32 v[46:47], v[6:7], s[10:11], v[46:47] neg_lo:[0,0,1] neg_hi:[0,0,1]
	v_pk_add_f32 v[136:137], v[136:137], v[142:143]
	v_pk_mul_f32 v[142:143], v[64:65], s[34:35]
	v_pk_mul_f32 v[64:65], v[64:65], s[36:37]
	v_pk_fma_f32 v[144:145], v[18:19], s[10:11], v[142:143]
	v_pk_fma_f32 v[146:147], v[18:19], s[10:11], v[142:143] neg_lo:[1,0,0] neg_hi:[1,0,0]
	v_pk_fma_f32 v[162:163], v[18:19], s[18:19], v[64:65] neg_lo:[1,0,0] neg_hi:[1,0,0]
	v_mov_b32_e32 v146, v144
	v_pk_add_f32 v[136:137], v[136:137], v[146:147]
	v_pk_mul_f32 v[146:147], v[58:59], s[48:49]
	v_pk_mul_f32 v[58:59], v[58:59], s[50:51]
	v_pk_fma_f32 v[148:149], v[24:25], s[42:43], v[146:147]
	v_pk_fma_f32 v[150:151], v[24:25], s[42:43], v[146:147] neg_lo:[1,0,0] neg_hi:[1,0,0]
	v_pk_fma_f32 v[164:165], v[24:25], s[44:45], v[58:59] neg_lo:[1,0,0] neg_hi:[1,0,0]
	v_mov_b32_e32 v150, v148
	;; [unrolled: 7-line block ×4, first 2 shown]
	v_pk_add_f32 v[136:137], v[136:137], v[158:159]
	ds_write2_b64 v99, v[110:111], v[136:137] offset0:4 offset1:5
	v_pk_fma_f32 v[110:111], v[6:7], s[20:21], v[72:73]
	v_pk_fma_f32 v[136:137], v[6:7], s[20:21], v[72:73] neg_lo:[1,0,0] neg_hi:[1,0,0]
	v_pk_fma_f32 v[158:159], v[12:13], s[26:27], v[66:67]
	v_mov_b32_e32 v136, v110
	v_pk_add_f32 v[136:137], v[0:1], v[136:137]
	v_mov_b32_e32 v160, v158
	v_pk_add_f32 v[136:137], v[136:137], v[160:161]
	v_pk_fma_f32 v[160:161], v[18:19], s[18:19], v[64:65]
	v_pk_fma_f32 v[72:73], v[6:7], s[20:21], v[72:73] neg_lo:[0,0,1] neg_hi:[0,0,1]
	v_mov_b32_e32 v162, v160
	v_pk_add_f32 v[136:137], v[136:137], v[162:163]
	v_pk_fma_f32 v[162:163], v[24:25], s[44:45], v[58:59]
	v_mov_b32_e32 v73, v111
	v_pk_fma_f32 v[66:67], v[12:13], s[26:27], v[66:67] neg_lo:[0,0,1] neg_hi:[0,0,1]
	v_mov_b32_e32 v164, v162
	v_mov_b32_e32 v67, v159
	v_pk_add_f32 v[72:73], v[0:1], v[72:73]
	v_pk_fma_f32 v[64:65], v[18:19], s[18:19], v[64:65] neg_lo:[0,0,1] neg_hi:[0,0,1]
	v_pk_add_f32 v[136:137], v[136:137], v[164:165]
	v_pk_fma_f32 v[164:165], v[30:31], s[14:15], v[56:57]
	v_pk_add_f32 v[66:67], v[72:73], v[66:67]
	v_mov_b32_e32 v65, v161
	v_pk_fma_f32 v[58:59], v[24:25], s[44:45], v[58:59] neg_lo:[0,0,1] neg_hi:[0,0,1]
	v_mov_b32_e32 v166, v164
	v_pk_add_f32 v[64:65], v[66:67], v[64:65]
	v_mov_b32_e32 v59, v163
	v_pk_fma_f32 v[56:57], v[30:31], s[14:15], v[56:57] neg_lo:[0,0,1] neg_hi:[0,0,1]
	v_pk_add_f32 v[136:137], v[136:137], v[166:167]
	v_pk_fma_f32 v[166:167], v[36:37], s[24:25], v[44:45]
	v_pk_add_f32 v[58:59], v[64:65], v[58:59]
	v_mov_b32_e32 v57, v165
	v_pk_fma_f32 v[44:45], v[36:37], s[24:25], v[44:45] neg_lo:[0,0,1] neg_hi:[0,0,1]
	v_mov_b32_e32 v168, v166
	v_pk_add_f32 v[56:57], v[58:59], v[56:57]
	v_mov_b32_e32 v45, v167
	v_pk_add_f32 v[136:137], v[136:137], v[168:169]
	v_pk_add_f32 v[44:45], v[56:57], v[44:45]
	ds_write2_b64 v99, v[136:137], v[44:45] offset0:6 offset1:7
	v_pk_fma_f32 v[44:45], v[6:7], s[18:19], v[132:133] neg_lo:[0,0,1] neg_hi:[0,0,1]
	v_pk_fma_f32 v[56:57], v[12:13], s[24:25], v[138:139] neg_lo:[0,0,1] neg_hi:[0,0,1]
	v_mov_b32_e32 v45, v135
	v_mov_b32_e32 v57, v141
	v_pk_add_f32 v[44:45], v[0:1], v[44:45]
	v_pk_fma_f32 v[58:59], v[12:13], s[22:23], v[112:113] neg_lo:[0,0,1] neg_hi:[0,0,1]
	v_pk_add_f32 v[44:45], v[44:45], v[56:57]
	v_pk_fma_f32 v[56:57], v[18:19], s[10:11], v[142:143] neg_lo:[0,0,1] neg_hi:[0,0,1]
	v_mov_b32_e32 v59, v115
	v_mov_b32_e32 v57, v145
	v_pk_add_f32 v[44:45], v[44:45], v[56:57]
	v_pk_fma_f32 v[56:57], v[24:25], s[42:43], v[146:147] neg_lo:[0,0,1] neg_hi:[0,0,1]
	v_mov_b32_e32 v47, v43
	v_mov_b32_e32 v57, v149
	v_pk_add_f32 v[44:45], v[44:45], v[56:57]
	v_pk_fma_f32 v[56:57], v[30:31], s[26:27], v[150:151] neg_lo:[0,0,1] neg_hi:[0,0,1]
	v_pk_fma_f32 v[42:43], v[12:13], s[14:15], v[50:51] neg_lo:[0,0,1] neg_hi:[0,0,1]
	v_mov_b32_e32 v57, v153
	v_pk_add_f32 v[44:45], v[44:45], v[56:57]
	v_pk_fma_f32 v[56:57], v[36:37], s[14:15], v[154:155] neg_lo:[0,0,1] neg_hi:[0,0,1]
	v_pk_add_f32 v[46:47], v[0:1], v[46:47]
	v_mov_b32_e32 v57, v157
	v_pk_add_f32 v[44:45], v[44:45], v[56:57]
	v_pk_fma_f32 v[56:57], v[6:7], s[14:15], v[100:101] neg_lo:[0,0,1] neg_hi:[0,0,1]
	v_mov_b32_e32 v43, v49
	v_mov_b32_e32 v57, v103
	v_pk_add_f32 v[56:57], v[0:1], v[56:57]
	v_pk_add_f32 v[42:43], v[46:47], v[42:43]
	;; [unrolled: 1-line block ×3, first 2 shown]
	v_pk_fma_f32 v[58:59], v[18:19], s[26:27], v[116:117] neg_lo:[0,0,1] neg_hi:[0,0,1]
	v_pk_fma_f32 v[46:47], v[18:19], s[20:21], v[54:55] neg_lo:[0,0,1] neg_hi:[0,0,1]
	v_mov_b32_e32 v59, v119
	v_pk_add_f32 v[56:57], v[56:57], v[58:59]
	v_pk_fma_f32 v[58:59], v[24:25], s[12:13], v[120:121] neg_lo:[0,0,1] neg_hi:[0,0,1]
	v_mov_b32_e32 v47, v53
	v_mov_b32_e32 v59, v123
	v_pk_add_f32 v[56:57], v[56:57], v[58:59]
	v_pk_fma_f32 v[58:59], v[30:31], s[42:43], v[124:125] neg_lo:[0,0,1] neg_hi:[0,0,1]
	v_pk_add_f32 v[42:43], v[42:43], v[46:47]
	v_mov_b32_e32 v59, v127
	v_pk_add_f32 v[56:57], v[56:57], v[58:59]
	v_pk_fma_f32 v[58:59], v[36:37], s[44:45], v[128:129] neg_lo:[0,0,1] neg_hi:[0,0,1]
	v_pk_fma_f32 v[46:47], v[24:25], s[22:23], v[62:63] neg_lo:[0,0,1] neg_hi:[0,0,1]
	v_mov_b32_e32 v59, v131
	v_pk_add_f32 v[56:57], v[56:57], v[58:59]
	ds_write2_b64 v99, v[44:45], v[56:57] offset0:8 offset1:9
	v_pk_fma_f32 v[44:45], v[6:7], s[12:13], v[80:81] neg_lo:[0,0,1] neg_hi:[0,0,1]
	v_pk_fma_f32 v[6:7], v[6:7], s[0:1], v[10:11] neg_lo:[0,0,1] neg_hi:[0,0,1]
	v_mov_b32_e32 v45, v79
	v_mov_b32_e32 v7, v9
	v_pk_fma_f32 v[56:57], v[12:13], s[20:21], v[84:85] neg_lo:[0,0,1] neg_hi:[0,0,1]
	v_pk_add_f32 v[44:45], v[0:1], v[44:45]
	v_pk_add_f32 v[0:1], v[0:1], v[6:7]
	v_pk_fma_f32 v[6:7], v[12:13], s[10:11], v[16:17] neg_lo:[0,0,1] neg_hi:[0,0,1]
	v_mov_b32_e32 v57, v83
	v_mov_b32_e32 v7, v15
	v_pk_add_f32 v[44:45], v[44:45], v[56:57]
	v_pk_fma_f32 v[56:57], v[18:19], s[30:31], v[88:89] neg_lo:[0,0,1] neg_hi:[0,0,1]
	v_pk_add_f32 v[0:1], v[0:1], v[6:7]
	v_pk_fma_f32 v[6:7], v[18:19], s[12:13], v[22:23] neg_lo:[0,0,1] neg_hi:[0,0,1]
	v_mov_b32_e32 v57, v87
	v_mov_b32_e32 v7, v21
	v_pk_add_f32 v[44:45], v[44:45], v[56:57]
	v_pk_fma_f32 v[56:57], v[24:25], s[26:27], v[92:93] neg_lo:[0,0,1] neg_hi:[0,0,1]
	v_pk_add_f32 v[0:1], v[0:1], v[6:7]
	v_pk_fma_f32 v[6:7], v[24:25], s[14:15], v[28:29] neg_lo:[0,0,1] neg_hi:[0,0,1]
	v_mov_b32_e32 v57, v91
	v_mov_b32_e32 v47, v61
	;; [unrolled: 1-line block ×3, first 2 shown]
	v_pk_add_f32 v[44:45], v[44:45], v[56:57]
	v_pk_fma_f32 v[56:57], v[30:31], s[10:11], v[104:105] neg_lo:[0,0,1] neg_hi:[0,0,1]
	v_pk_add_f32 v[42:43], v[42:43], v[46:47]
	v_pk_fma_f32 v[46:47], v[30:31], s[24:25], v[70:71] neg_lo:[0,0,1] neg_hi:[0,0,1]
	;; [unrolled: 2-line block ×3, first 2 shown]
	v_mov_b32_e32 v57, v95
	v_mov_b32_e32 v47, v69
	;; [unrolled: 1-line block ×3, first 2 shown]
	v_pk_add_f32 v[44:45], v[44:45], v[56:57]
	v_pk_fma_f32 v[56:57], v[36:37], s[18:19], v[106:107] neg_lo:[0,0,1] neg_hi:[0,0,1]
	v_pk_add_f32 v[42:43], v[42:43], v[46:47]
	v_pk_fma_f32 v[46:47], v[36:37], s[26:27], v[76:77] neg_lo:[0,0,1] neg_hi:[0,0,1]
	;; [unrolled: 2-line block ×3, first 2 shown]
	v_mov_b32_e32 v57, v109
	v_mov_b32_e32 v47, v75
	;; [unrolled: 1-line block ×3, first 2 shown]
	v_pk_add_f32 v[44:45], v[44:45], v[56:57]
	v_pk_add_f32 v[42:43], v[42:43], v[46:47]
	;; [unrolled: 1-line block ×3, first 2 shown]
	ds_write2_b64 v99, v[44:45], v[42:43] offset0:10 offset1:11
	ds_write_b64 v99, v[0:1] offset:96
.LBB0_14:
	s_or_b64 exec, exec, s[4:5]
	s_movk_i32 s0, 0x4f
	v_add_u16_e32 v6, 39, v96
	v_mul_lo_u16_sdwa v7, v6, s0 dst_sel:DWORD dst_unused:UNUSED_PAD src0_sel:BYTE_0 src1_sel:DWORD
	v_lshrrev_b16_e32 v40, 10, v7
	v_mul_lo_u16_e32 v7, 13, v40
	v_sub_u16_e32 v41, v6, v7
	v_add_u16_e32 v6, 0x4e, v96
	s_waitcnt vmcnt(12)
	v_mul_lo_u16_sdwa v0, v96, s0 dst_sel:DWORD dst_unused:UNUSED_PAD src0_sel:BYTE_0 src1_sel:DWORD
	v_mul_lo_u16_sdwa v7, v6, s0 dst_sel:DWORD dst_unused:UNUSED_PAD src0_sel:BYTE_0 src1_sel:DWORD
	v_lshrrev_b16_e32 v1, 10, v0
	v_lshrrev_b16_e32 v42, 10, v7
	v_mul_lo_u16_e32 v0, 13, v1
	v_mul_lo_u16_e32 v7, 13, v42
	v_sub_u16_e32 v9, v96, v0
	v_mov_b32_e32 v0, 4
	v_sub_u16_e32 v43, v6, v7
	v_lshlrev_b32_sdwa v6, v0, v43 dst_sel:DWORD dst_unused:UNUSED_PAD src0_sel:DWORD src1_sel:BYTE_0
	s_waitcnt lgkmcnt(0)
	s_barrier
	global_load_dwordx4 v[10:13], v6, s[8:9]
	v_lshlrev_b32_sdwa v6, v0, v41 dst_sel:DWORD dst_unused:UNUSED_PAD src0_sel:DWORD src1_sel:BYTE_0
	v_lshlrev_b32_sdwa v0, v0, v9 dst_sel:DWORD dst_unused:UNUSED_PAD src0_sel:DWORD src1_sel:BYTE_0
	global_load_dwordx4 v[14:17], v6, s[8:9]
	global_load_dwordx4 v[18:21], v0, s[8:9]
	v_lshlrev_b32_e32 v0, 3, v96
	v_add3_u32 v8, 0, v0, v98
	v_add3_u32 v7, 0, v98, v0
	s_waitcnt vmcnt(6)
	ds_read2_b64 v[22:25], v8 offset0:117 offset1:156
	ds_read2_b64 v[26:29], v8 offset0:195 offset1:234
	v_add_u32_e32 v6, 0x800, v8
	ds_read2_b64 v[30:33], v8 offset0:39 offset1:78
	ds_read_b64 v[38:39], v7
	ds_read2_b64 v[34:37], v6 offset0:17 offset1:56
	s_movk_i32 s1, 0x138
	v_mov_b32_e32 v44, 3
	v_mad_u32_u24 v1, v1, s1, 0
	v_mad_u32_u24 v40, v40, s1, 0
	v_lshlrev_b32_sdwa v9, v44, v9 dst_sel:DWORD dst_unused:UNUSED_PAD src0_sel:DWORD src1_sel:BYTE_0
	v_lshlrev_b32_sdwa v41, v44, v41 dst_sel:DWORD dst_unused:UNUSED_PAD src0_sel:DWORD src1_sel:BYTE_0
	;; [unrolled: 1-line block ×3, first 2 shown]
	v_add3_u32 v1, v1, v9, v98
	v_add3_u32 v9, v40, v41, v98
	v_mad_u32_u24 v42, v42, s1, 0
	s_mov_b32 s0, 0x3f5db3d7
	v_add3_u32 v43, v42, v43, v98
	s_waitcnt lgkmcnt(0)
	s_barrier
	s_waitcnt vmcnt(2)
	v_pk_mul_f32 v[40:41], v[10:11], v[26:27] op_sel:[0,1]
	s_nop 0
	v_pk_fma_f32 v[52:53], v[10:11], v[26:27], v[40:41] op_sel:[0,0,1] op_sel_hi:[1,1,0]
	v_pk_fma_f32 v[10:11], v[10:11], v[26:27], v[40:41] op_sel:[0,0,1] op_sel_hi:[1,0,0] neg_lo:[1,0,0] neg_hi:[1,0,0]
	s_waitcnt vmcnt(1)
	v_pk_mul_f32 v[44:45], v[14:15], v[24:25] op_sel:[0,1]
	v_pk_mul_f32 v[46:47], v[16:17], v[34:35] op_sel:[0,1]
	s_waitcnt vmcnt(0)
	v_pk_mul_f32 v[48:49], v[18:19], v[22:23] op_sel:[0,1]
	v_pk_mul_f32 v[50:51], v[20:21], v[28:29] op_sel:[0,1]
	v_pk_fma_f32 v[40:41], v[14:15], v[24:25], v[44:45] op_sel:[0,0,1] op_sel_hi:[1,1,0]
	v_pk_fma_f32 v[14:15], v[14:15], v[24:25], v[44:45] op_sel:[0,0,1] op_sel_hi:[1,0,0] neg_lo:[1,0,0] neg_hi:[1,0,0]
	v_pk_fma_f32 v[24:25], v[16:17], v[34:35], v[46:47] op_sel:[0,0,1] op_sel_hi:[1,1,0]
	v_pk_fma_f32 v[16:17], v[16:17], v[34:35], v[46:47] op_sel:[0,0,1] op_sel_hi:[1,0,0] neg_lo:[1,0,0] neg_hi:[1,0,0]
	;; [unrolled: 2-line block ×4, first 2 shown]
	v_mov_b32_e32 v35, v19
	v_mov_b32_e32 v23, v21
	;; [unrolled: 1-line block ×4, first 2 shown]
	v_pk_add_f32 v[18:19], v[34:35], v[22:23]
	v_pk_add_f32 v[20:21], v[34:35], v[22:23] neg_lo:[0,1] neg_hi:[0,1]
	v_pk_mul_f32 v[26:27], v[36:37], v[42:43] op_sel_hi:[1,0]
	v_mov_b32_e32 v25, v17
	v_pk_add_f32 v[14:15], v[30:31], v[40:41]
	v_pk_fma_f32 v[18:19], v[18:19], 0.5, v[38:39] op_sel_hi:[1,0,1] neg_lo:[1,0,0] neg_hi:[1,0,0]
	v_pk_mul_f32 v[20:21], v[20:21], s[0:1] op_sel_hi:[1,0]
	v_mov_b32_e32 v53, v11
	v_pk_fma_f32 v[10:11], v[36:37], v[12:13], v[26:27] op_sel:[0,0,1] op_sel_hi:[1,1,0]
	v_pk_fma_f32 v[12:13], v[36:37], v[12:13], v[26:27] op_sel:[0,0,1] op_sel_hi:[1,0,0] neg_lo:[0,0,1] neg_hi:[0,0,1]
	v_pk_add_f32 v[16:17], v[38:39], v[34:35]
	v_pk_add_f32 v[26:27], v[40:41], v[24:25]
	v_pk_add_f32 v[28:29], v[40:41], v[24:25] neg_lo:[0,1] neg_hi:[0,1]
	v_pk_add_f32 v[14:15], v[14:15], v[24:25]
	v_pk_add_f32 v[24:25], v[18:19], v[20:21] op_sel:[0,1] op_sel_hi:[1,0] neg_lo:[0,1] neg_hi:[0,1]
	v_pk_add_f32 v[18:19], v[18:19], v[20:21] op_sel:[0,1] op_sel_hi:[1,0]
	v_pk_add_f32 v[16:17], v[16:17], v[22:23]
	v_mov_b32_e32 v20, v24
	v_mov_b32_e32 v21, v19
	v_pk_fma_f32 v[22:23], v[26:27], 0.5, v[30:31] op_sel_hi:[1,0,1] neg_lo:[1,0,0] neg_hi:[1,0,0]
	v_mov_b32_e32 v19, v25
	ds_write2_b64 v1, v[16:17], v[20:21] offset1:13
	ds_write_b64 v1, v[18:19] offset:208
	v_pk_mul_f32 v[16:17], v[28:29], s[0:1] op_sel_hi:[1,0]
	v_mov_b32_e32 v11, v13
	v_pk_add_f32 v[18:19], v[22:23], v[16:17] op_sel:[0,1] op_sel_hi:[1,0] neg_lo:[0,1] neg_hi:[0,1]
	v_pk_add_f32 v[16:17], v[22:23], v[16:17] op_sel:[0,1] op_sel_hi:[1,0]
	v_pk_add_f32 v[12:13], v[32:33], v[52:53]
	v_mov_b32_e32 v20, v18
	v_mov_b32_e32 v21, v17
	v_pk_add_f32 v[12:13], v[12:13], v[10:11]
	ds_write2_b64 v9, v[14:15], v[20:21] offset1:13
	v_pk_add_f32 v[14:15], v[52:53], v[10:11]
	v_pk_add_f32 v[10:11], v[52:53], v[10:11] neg_lo:[0,1] neg_hi:[0,1]
	v_mov_b32_e32 v17, v19
	v_pk_fma_f32 v[14:15], v[14:15], 0.5, v[32:33] op_sel_hi:[1,0,1] neg_lo:[1,0,0] neg_hi:[1,0,0]
	v_pk_mul_f32 v[10:11], v[10:11], s[0:1] op_sel_hi:[1,0]
	ds_write_b64 v9, v[16:17] offset:208
	v_pk_add_f32 v[16:17], v[14:15], v[10:11] op_sel:[0,1] op_sel_hi:[1,0] neg_lo:[0,1] neg_hi:[0,1]
	v_pk_add_f32 v[10:11], v[14:15], v[10:11] op_sel:[0,1] op_sel_hi:[1,0]
	v_mov_b32_e32 v14, v16
	v_mov_b32_e32 v15, v11
	;; [unrolled: 1-line block ×3, first 2 shown]
	ds_write2_b64 v43, v[12:13], v[14:15] offset1:13
	ds_write_b64 v43, v[10:11] offset:208
	s_waitcnt lgkmcnt(0)
	s_barrier
	s_and_saveexec_b64 s[4:5], vcc
	s_cbranch_execz .LBB0_16
; %bb.15:
	v_mul_lo_u32 v1, s3, v4
	v_mul_lo_u32 v9, s2, v5
	v_mad_u64_u32 v[4:5], s[2:3], s2, v4, 0
	v_add3_u32 v5, v5, v9, v1
	v_mov_b32_e32 v1, 0
	v_lshl_add_u64 v[0:1], v[0:1], 3, s[8:9]
	ds_read2_b64 v[10:13], v8 offset0:39 offset1:78
	global_load_dwordx4 v[14:17], v[0:1], off offset:256
	global_load_dwordx4 v[18:21], v[0:1], off offset:240
	;; [unrolled: 1-line block ×4, first 2 shown]
	v_mad_u64_u32 v[0:1], s[2:3], s16, v97, 0
	v_mov_b32_e32 v38, v1
	v_mad_u64_u32 v[38:39], s[2:3], s17, v97, v[38:39]
	v_lshl_add_u64 v[4:5], v[4:5], 3, s[6:7]
	v_mov_b32_e32 v1, v38
	v_lshl_add_u64 v[4:5], v[2:3], 3, v[4:5]
	v_add_u32_e32 v3, 39, v97
	v_lshl_add_u64 v[38:39], v[0:1], 3, v[4:5]
	v_mad_u64_u32 v[0:1], s[2:3], s16, v3, 0
	v_mov_b32_e32 v2, v1
	v_mad_u64_u32 v[2:3], s[2:3], s17, v3, v[2:3]
	v_mov_b32_e32 v1, v2
	v_add_u32_e32 v3, 0x4e, v97
	v_lshl_add_u64 v[40:41], v[0:1], 3, v[4:5]
	v_mad_u64_u32 v[0:1], s[2:3], s16, v3, 0
	v_mov_b32_e32 v2, v1
	v_mad_u64_u32 v[2:3], s[2:3], s17, v3, v[2:3]
	v_mov_b32_e32 v1, v2
	;; [unrolled: 6-line block ×7, first 2 shown]
	ds_read2_b64 v[30:33], v8 offset0:117 offset1:156
	ds_read2_b64 v[34:37], v8 offset0:195 offset1:234
	ds_read_b64 v[8:9], v7
	v_lshl_add_u64 v[52:53], v[0:1], 3, v[4:5]
	ds_read2_b64 v[0:3], v6 offset0:17 offset1:56
	v_add_u32_e32 v7, 0x138, v97
	v_mad_u64_u32 v[54:55], s[2:3], s16, v7, 0
	v_mov_b32_e32 v56, v55
	v_mad_u64_u32 v[6:7], s[2:3], s17, v7, v[56:57]
	v_mov_b32_e32 v55, v6
	v_lshl_add_u64 v[4:5], v[54:55], 3, v[4:5]
	s_mov_b32 s2, 0x3f248dbb
	s_waitcnt vmcnt(3) lgkmcnt(0)
	v_pk_mul_f32 v[6:7], v[0:1], v[14:15] op_sel:[0,1]
	s_mov_b32 s3, 0x3f7c1c5c
	v_pk_fma_f32 v[54:55], v[14:15], v[0:1], v[6:7] op_sel:[0,0,1] op_sel_hi:[1,1,0]
	v_pk_fma_f32 v[0:1], v[14:15], v[0:1], v[6:7] op_sel:[0,0,1] op_sel_hi:[0,1,0] neg_lo:[0,0,1] neg_hi:[0,0,1]
	s_waitcnt vmcnt(0)
	v_pk_mul_f32 v[6:7], v[28:29], v[12:13] op_sel:[0,1]
	v_mov_b32_e32 v0, v17
	v_pk_fma_f32 v[14:15], v[28:29], v[12:13], v[6:7] op_sel:[0,0,1] op_sel_hi:[1,1,0]
	v_pk_fma_f32 v[6:7], v[28:29], v[12:13], v[6:7] op_sel:[0,0,1] op_sel_hi:[1,0,0] neg_lo:[1,0,0] neg_hi:[1,0,0]
	v_pk_mul_f32 v[12:13], v[2:3], v[0:1] op_sel_hi:[1,0]
	v_mov_b32_e32 v55, v1
	v_pk_fma_f32 v[28:29], v[16:17], v[2:3], v[12:13] op_sel:[0,0,1] op_sel_hi:[1,1,0]
	v_pk_fma_f32 v[2:3], v[16:17], v[2:3], v[12:13] op_sel:[0,0,1] op_sel_hi:[0,1,0] neg_lo:[0,0,1] neg_hi:[0,0,1]
	v_pk_mul_f32 v[12:13], v[26:27], v[10:11] op_sel:[0,1]
	v_mov_b32_e32 v15, v7
	v_pk_fma_f32 v[16:17], v[26:27], v[10:11], v[12:13] op_sel:[0,0,1] op_sel_hi:[1,1,0]
	v_pk_fma_f32 v[10:11], v[26:27], v[10:11], v[12:13] op_sel:[0,0,1] op_sel_hi:[1,0,0] neg_lo:[1,0,0] neg_hi:[1,0,0]
	v_mov_b32_e32 v6, v7
	v_mov_b32_e32 v7, v16
	v_mov_b32_e32 v0, v1
	v_mov_b32_e32 v1, v28
	v_mov_b32_e32 v29, v3
	v_pk_add_f32 v[0:1], v[6:7], v[0:1] neg_lo:[0,1] neg_hi:[0,1]
	v_mov_b32_e32 v6, v11
	v_mov_b32_e32 v7, v14
	;; [unrolled: 1-line block ×4, first 2 shown]
	v_pk_add_f32 v[2:3], v[6:7], v[2:3] neg_lo:[0,1] neg_hi:[0,1]
	v_pk_mul_f32 v[6:7], v[18:19], v[34:35] op_sel:[0,1]
	v_mov_b32_e32 v17, v11
	v_pk_fma_f32 v[10:11], v[18:19], v[34:35], v[6:7] op_sel:[0,0,1] op_sel_hi:[1,1,0]
	v_pk_fma_f32 v[6:7], v[18:19], v[34:35], v[6:7] op_sel:[0,0,1] op_sel_hi:[1,0,0] neg_lo:[1,0,0] neg_hi:[1,0,0]
	v_pk_mul_f32 v[18:19], v[20:21], v[36:37] op_sel:[0,1]
	v_mov_b32_e32 v11, v7
	v_pk_mul_f32 v[6:7], v[24:25], v[32:33] op_sel:[0,1]
	s_mov_b32 s4, s3
	v_pk_fma_f32 v[12:13], v[24:25], v[32:33], v[6:7] op_sel:[0,0,1] op_sel_hi:[1,1,0]
	v_pk_fma_f32 v[6:7], v[24:25], v[32:33], v[6:7] op_sel:[0,0,1] op_sel_hi:[1,0,0] neg_lo:[1,0,0] neg_hi:[1,0,0]
	v_pk_fma_f32 v[24:25], v[20:21], v[36:37], v[18:19] op_sel:[0,0,1] op_sel_hi:[1,1,0]
	v_pk_fma_f32 v[18:19], v[20:21], v[36:37], v[18:19] op_sel:[0,0,1] op_sel_hi:[1,0,0] neg_lo:[1,0,0] neg_hi:[1,0,0]
	s_mov_b32 s5, s2
	v_mov_b32_e32 v25, v19
	v_pk_mul_f32 v[18:19], v[22:23], v[30:31] op_sel:[0,1]
	v_mov_b32_e32 v13, v7
	v_pk_fma_f32 v[20:21], v[22:23], v[30:31], v[18:19] op_sel:[0,0,1] op_sel_hi:[1,1,0]
	v_pk_fma_f32 v[18:19], v[22:23], v[30:31], v[18:19] op_sel:[0,0,1] op_sel_hi:[1,0,0] neg_lo:[1,0,0] neg_hi:[1,0,0]
	v_pk_add_f32 v[6:7], v[12:13], v[10:11] neg_lo:[0,1] neg_hi:[0,1]
	v_mov_b32_e32 v21, v19
	v_pk_add_f32 v[18:19], v[20:21], v[24:25] neg_lo:[0,1] neg_hi:[0,1]
	v_pk_add_f32 v[20:21], v[20:21], v[24:25]
	v_pk_mul_f32 v[24:25], v[2:3], s[2:3]
	v_pk_mul_f32 v[18:19], v[18:19], s[0:1] op_sel_hi:[1,0]
	v_pk_fma_f32 v[24:25], v[0:1], s[4:5], v[24:25]
	s_mov_b32 s2, 0x3eaf1d44
	v_pk_add_f32 v[24:25], v[18:19], v[24:25] op_sel:[1,0] op_sel_hi:[0,1]
	v_mov_b32_e32 v33, v3
	v_mov_b32_e32 v3, v1
	s_mov_b32 s10, s3
	s_mov_b32 s12, 0xbf248dbb
	v_pk_fma_f32 v[24:25], v[6:7], s[2:3], v[24:25] op_sel:[1,0,0] op_sel_hi:[0,0,1]
	v_mov_b32_e32 v32, v0
	v_pk_mul_f32 v[0:1], v[6:7], s[12:13] op_sel:[1,0] op_sel_hi:[0,0]
	v_pk_add_f32 v[58:59], v[2:3], v[6:7] op_sel:[0,1] op_sel_hi:[1,0]
	v_pk_mul_f32 v[6:7], v[6:7], s[10:11] op_sel:[1,0] op_sel_hi:[0,0]
	v_pk_fma_f32 v[6:7], v[32:33], s[12:13], v[6:7] op_sel_hi:[1,0,1] neg_lo:[0,0,1] neg_hi:[0,0,1]
	v_pk_add_f32 v[22:23], v[12:13], v[10:11]
	v_pk_add_f32 v[14:15], v[14:15], v[54:55]
	;; [unrolled: 1-line block ×3, first 2 shown]
	s_mov_b32 s6, 0x3f441b7d
	v_pk_add_f32 v[6:7], v[18:19], v[6:7] op_sel:[1,0] op_sel_hi:[0,1]
	s_mov_b32 s4, 0x3e31d0d4
	v_pk_fma_f32 v[26:27], v[16:17], s[6:7], v[8:9] op_sel_hi:[1,0,1]
	v_pk_fma_f32 v[0:1], v[2:3], s[10:11], v[0:1] op_sel_hi:[1,0,1]
	;; [unrolled: 1-line block ×7, first 2 shown]
	v_pk_add_f32 v[56:57], v[16:17], v[14:15]
	v_pk_fma_f32 v[6:7], v[22:23], s[4:5], v[6:7] op_sel_hi:[1,0,1]
	v_pk_fma_f32 v[26:27], v[20:21], 0.5, v[26:27] op_sel_hi:[1,0,1] neg_lo:[1,0,0] neg_hi:[1,0,0]
	s_mov_b32 s8, 0x3f708fb2
	v_pk_add_f32 v[0:1], v[0:1], v[18:19] op_sel:[0,1] op_sel_hi:[1,0] neg_lo:[0,1] neg_hi:[0,1]
	v_pk_fma_f32 v[34:35], v[20:21], 0.5, v[34:35] op_sel_hi:[1,0,1] neg_lo:[1,0,0] neg_hi:[1,0,0]
	v_pk_add_f32 v[62:63], v[20:21], v[8:9]
	v_pk_add_f32 v[64:65], v[56:57], v[22:23]
	v_pk_fma_f32 v[6:7], v[20:21], 0.5, v[6:7] op_sel_hi:[1,0,1] neg_lo:[1,0,0] neg_hi:[1,0,0]
	v_pk_fma_f32 v[26:27], v[22:23], s[8:9], v[26:27] op_sel_hi:[1,0,1] neg_lo:[1,0,0] neg_hi:[1,0,0]
	v_pk_fma_f32 v[0:1], v[32:33], s[2:3], v[0:1] op_sel_hi:[1,0,1]
	v_pk_fma_f32 v[34:35], v[14:15], s[8:9], v[34:35] op_sel_hi:[1,0,1] neg_lo:[1,0,0] neg_hi:[1,0,0]
	v_pk_add_f32 v[58:59], v[58:59], v[32:33] neg_lo:[0,1] neg_hi:[0,1]
	v_pk_fma_f32 v[62:63], v[64:65], 0.5, v[62:63] op_sel_hi:[1,0,1] neg_lo:[1,0,0] neg_hi:[1,0,0]
	v_pk_fma_f32 v[6:7], v[16:17], s[8:9], v[6:7] op_sel_hi:[1,0,1] neg_lo:[1,0,0] neg_hi:[1,0,0]
	v_pk_add_f32 v[18:19], v[20:21], v[56:57]
	v_pk_add_f32 v[28:29], v[26:27], v[24:25] neg_lo:[0,1] neg_hi:[0,1]
	v_pk_add_f32 v[26:27], v[26:27], v[24:25]
	v_pk_add_f32 v[36:37], v[34:35], v[0:1] neg_lo:[0,1] neg_hi:[0,1]
	v_pk_add_f32 v[34:35], v[34:35], v[0:1]
	v_pk_mul_f32 v[60:61], v[58:59], s[0:1] op_sel_hi:[1,0]
	v_pk_fma_f32 v[64:65], v[58:59], s[0:1], v[62:63] op_sel_hi:[1,0,1] neg_lo:[1,0,0] neg_hi:[1,0,0]
	v_pk_fma_f32 v[58:59], v[58:59], s[0:1], v[62:63] op_sel_hi:[1,0,1]
	v_pk_add_f32 v[14:15], v[6:7], v[2:3] neg_lo:[0,1] neg_hi:[0,1]
	v_pk_add_f32 v[6:7], v[6:7], v[2:3]
	v_pk_add_f32 v[12:13], v[18:19], v[12:13]
	v_pk_fma_f32 v[30:31], v[24:25], 2.0, v[28:29] op_sel_hi:[1,0,1]
	v_pk_fma_f32 v[24:25], v[24:25], 2.0, v[26:27] op_sel_hi:[1,0,1] neg_lo:[1,0,0] neg_hi:[1,0,0]
	v_pk_fma_f32 v[54:55], v[0:1], 2.0, v[36:37] op_sel_hi:[1,0,1]
	v_pk_fma_f32 v[0:1], v[0:1], 2.0, v[34:35] op_sel_hi:[1,0,1] neg_lo:[1,0,0] neg_hi:[1,0,0]
	;; [unrolled: 2-line block ×4, first 2 shown]
	v_pk_add_f32 v[10:11], v[12:13], v[10:11]
	v_mov_b32_e32 v29, v27
	v_pk_add_f32 v[8:9], v[8:9], v[10:11]
	v_mov_b32_e32 v37, v35
	v_mov_b32_e32 v65, v59
	;; [unrolled: 1-line block ×7, first 2 shown]
	global_store_dwordx2 v[38:39], v[8:9], off
	global_store_dwordx2 v[40:41], v[28:29], off
	;; [unrolled: 1-line block ×9, first 2 shown]
.LBB0_16:
	s_endpgm
	.section	.rodata,"a",@progbits
	.p2align	6, 0x0
	.amdhsa_kernel fft_rtc_back_len351_factors_13_3_9_wgs_117_tpt_39_sp_op_CI_CI_sbrr_dirReg
		.amdhsa_group_segment_fixed_size 0
		.amdhsa_private_segment_fixed_size 0
		.amdhsa_kernarg_size 104
		.amdhsa_user_sgpr_count 2
		.amdhsa_user_sgpr_dispatch_ptr 0
		.amdhsa_user_sgpr_queue_ptr 0
		.amdhsa_user_sgpr_kernarg_segment_ptr 1
		.amdhsa_user_sgpr_dispatch_id 0
		.amdhsa_user_sgpr_kernarg_preload_length 0
		.amdhsa_user_sgpr_kernarg_preload_offset 0
		.amdhsa_user_sgpr_private_segment_size 0
		.amdhsa_uses_dynamic_stack 0
		.amdhsa_enable_private_segment 0
		.amdhsa_system_sgpr_workgroup_id_x 1
		.amdhsa_system_sgpr_workgroup_id_y 0
		.amdhsa_system_sgpr_workgroup_id_z 0
		.amdhsa_system_sgpr_workgroup_info 0
		.amdhsa_system_vgpr_workitem_id 0
		.amdhsa_next_free_vgpr 170
		.amdhsa_next_free_sgpr 52
		.amdhsa_accum_offset 172
		.amdhsa_reserve_vcc 1
		.amdhsa_float_round_mode_32 0
		.amdhsa_float_round_mode_16_64 0
		.amdhsa_float_denorm_mode_32 3
		.amdhsa_float_denorm_mode_16_64 3
		.amdhsa_dx10_clamp 1
		.amdhsa_ieee_mode 1
		.amdhsa_fp16_overflow 0
		.amdhsa_tg_split 0
		.amdhsa_exception_fp_ieee_invalid_op 0
		.amdhsa_exception_fp_denorm_src 0
		.amdhsa_exception_fp_ieee_div_zero 0
		.amdhsa_exception_fp_ieee_overflow 0
		.amdhsa_exception_fp_ieee_underflow 0
		.amdhsa_exception_fp_ieee_inexact 0
		.amdhsa_exception_int_div_zero 0
	.end_amdhsa_kernel
	.text
.Lfunc_end0:
	.size	fft_rtc_back_len351_factors_13_3_9_wgs_117_tpt_39_sp_op_CI_CI_sbrr_dirReg, .Lfunc_end0-fft_rtc_back_len351_factors_13_3_9_wgs_117_tpt_39_sp_op_CI_CI_sbrr_dirReg
                                        ; -- End function
	.section	.AMDGPU.csdata,"",@progbits
; Kernel info:
; codeLenInByte = 6860
; NumSgprs: 58
; NumVgprs: 170
; NumAgprs: 0
; TotalNumVgprs: 170
; ScratchSize: 0
; MemoryBound: 0
; FloatMode: 240
; IeeeMode: 1
; LDSByteSize: 0 bytes/workgroup (compile time only)
; SGPRBlocks: 7
; VGPRBlocks: 21
; NumSGPRsForWavesPerEU: 58
; NumVGPRsForWavesPerEU: 170
; AccumOffset: 172
; Occupancy: 2
; WaveLimiterHint : 1
; COMPUTE_PGM_RSRC2:SCRATCH_EN: 0
; COMPUTE_PGM_RSRC2:USER_SGPR: 2
; COMPUTE_PGM_RSRC2:TRAP_HANDLER: 0
; COMPUTE_PGM_RSRC2:TGID_X_EN: 1
; COMPUTE_PGM_RSRC2:TGID_Y_EN: 0
; COMPUTE_PGM_RSRC2:TGID_Z_EN: 0
; COMPUTE_PGM_RSRC2:TIDIG_COMP_CNT: 0
; COMPUTE_PGM_RSRC3_GFX90A:ACCUM_OFFSET: 42
; COMPUTE_PGM_RSRC3_GFX90A:TG_SPLIT: 0
	.text
	.p2alignl 6, 3212836864
	.fill 256, 4, 3212836864
	.type	__hip_cuid_91343e34c2eb949b,@object ; @__hip_cuid_91343e34c2eb949b
	.section	.bss,"aw",@nobits
	.globl	__hip_cuid_91343e34c2eb949b
__hip_cuid_91343e34c2eb949b:
	.byte	0                               ; 0x0
	.size	__hip_cuid_91343e34c2eb949b, 1

	.ident	"AMD clang version 19.0.0git (https://github.com/RadeonOpenCompute/llvm-project roc-6.4.0 25133 c7fe45cf4b819c5991fe208aaa96edf142730f1d)"
	.section	".note.GNU-stack","",@progbits
	.addrsig
	.addrsig_sym __hip_cuid_91343e34c2eb949b
	.amdgpu_metadata
---
amdhsa.kernels:
  - .agpr_count:     0
    .args:
      - .actual_access:  read_only
        .address_space:  global
        .offset:         0
        .size:           8
        .value_kind:     global_buffer
      - .offset:         8
        .size:           8
        .value_kind:     by_value
      - .actual_access:  read_only
        .address_space:  global
        .offset:         16
        .size:           8
        .value_kind:     global_buffer
      - .actual_access:  read_only
        .address_space:  global
        .offset:         24
        .size:           8
        .value_kind:     global_buffer
      - .actual_access:  read_only
        .address_space:  global
        .offset:         32
        .size:           8
        .value_kind:     global_buffer
      - .offset:         40
        .size:           8
        .value_kind:     by_value
      - .actual_access:  read_only
        .address_space:  global
        .offset:         48
        .size:           8
        .value_kind:     global_buffer
      - .actual_access:  read_only
        .address_space:  global
        .offset:         56
        .size:           8
        .value_kind:     global_buffer
      - .offset:         64
        .size:           4
        .value_kind:     by_value
      - .actual_access:  read_only
        .address_space:  global
        .offset:         72
        .size:           8
        .value_kind:     global_buffer
      - .actual_access:  read_only
        .address_space:  global
        .offset:         80
        .size:           8
        .value_kind:     global_buffer
      - .actual_access:  read_only
        .address_space:  global
        .offset:         88
        .size:           8
        .value_kind:     global_buffer
      - .actual_access:  write_only
        .address_space:  global
        .offset:         96
        .size:           8
        .value_kind:     global_buffer
    .group_segment_fixed_size: 0
    .kernarg_segment_align: 8
    .kernarg_segment_size: 104
    .language:       OpenCL C
    .language_version:
      - 2
      - 0
    .max_flat_workgroup_size: 117
    .name:           fft_rtc_back_len351_factors_13_3_9_wgs_117_tpt_39_sp_op_CI_CI_sbrr_dirReg
    .private_segment_fixed_size: 0
    .sgpr_count:     58
    .sgpr_spill_count: 0
    .symbol:         fft_rtc_back_len351_factors_13_3_9_wgs_117_tpt_39_sp_op_CI_CI_sbrr_dirReg.kd
    .uniform_work_group_size: 1
    .uses_dynamic_stack: false
    .vgpr_count:     170
    .vgpr_spill_count: 0
    .wavefront_size: 64
amdhsa.target:   amdgcn-amd-amdhsa--gfx950
amdhsa.version:
  - 1
  - 2
...

	.end_amdgpu_metadata
